;; amdgpu-corpus repo=ROCm/rocFFT kind=compiled arch=gfx1030 opt=O3
	.text
	.amdgcn_target "amdgcn-amd-amdhsa--gfx1030"
	.amdhsa_code_object_version 6
	.protected	fft_rtc_fwd_len1859_factors_13_11_13_wgs_169_tpt_169_halfLds_half_op_CI_CI_unitstride_sbrr_dirReg ; -- Begin function fft_rtc_fwd_len1859_factors_13_11_13_wgs_169_tpt_169_halfLds_half_op_CI_CI_unitstride_sbrr_dirReg
	.globl	fft_rtc_fwd_len1859_factors_13_11_13_wgs_169_tpt_169_halfLds_half_op_CI_CI_unitstride_sbrr_dirReg
	.p2align	8
	.type	fft_rtc_fwd_len1859_factors_13_11_13_wgs_169_tpt_169_halfLds_half_op_CI_CI_unitstride_sbrr_dirReg,@function
fft_rtc_fwd_len1859_factors_13_11_13_wgs_169_tpt_169_halfLds_half_op_CI_CI_unitstride_sbrr_dirReg: ; @fft_rtc_fwd_len1859_factors_13_11_13_wgs_169_tpt_169_halfLds_half_op_CI_CI_unitstride_sbrr_dirReg
; %bb.0:
	s_clause 0x2
	s_load_dwordx4 s[12:15], s[4:5], 0x0
	s_load_dwordx4 s[8:11], s[4:5], 0x58
	;; [unrolled: 1-line block ×3, first 2 shown]
	v_mul_u32_u24_e32 v1, 0x184, v0
	v_mov_b32_e32 v5, 0
	v_add_nc_u32_sdwa v9, s6, v1 dst_sel:DWORD dst_unused:UNUSED_PAD src0_sel:DWORD src1_sel:WORD_1
	v_mov_b32_e32 v1, 0
	v_mov_b32_e32 v10, v5
	v_mov_b32_e32 v2, 0
	s_waitcnt lgkmcnt(0)
	v_cmp_lt_u64_e64 s0, s[14:15], 2
	s_and_b32 vcc_lo, exec_lo, s0
	s_cbranch_vccnz .LBB0_8
; %bb.1:
	s_load_dwordx2 s[0:1], s[4:5], 0x10
	v_mov_b32_e32 v1, 0
	v_mov_b32_e32 v2, 0
	s_add_u32 s2, s18, 8
	s_addc_u32 s3, s19, 0
	s_add_u32 s6, s16, 8
	s_addc_u32 s7, s17, 0
	v_mov_b32_e32 v4, v2
	v_mov_b32_e32 v3, v1
	s_mov_b64 s[22:23], 1
	s_waitcnt lgkmcnt(0)
	s_add_u32 s20, s0, 8
	s_addc_u32 s21, s1, 0
.LBB0_2:                                ; =>This Inner Loop Header: Depth=1
	s_load_dwordx2 s[24:25], s[20:21], 0x0
                                        ; implicit-def: $vgpr7_vgpr8
	s_mov_b32 s0, exec_lo
	s_waitcnt lgkmcnt(0)
	v_or_b32_e32 v6, s25, v10
	v_cmpx_ne_u64_e32 0, v[5:6]
	s_xor_b32 s1, exec_lo, s0
	s_cbranch_execz .LBB0_4
; %bb.3:                                ;   in Loop: Header=BB0_2 Depth=1
	v_cvt_f32_u32_e32 v6, s24
	v_cvt_f32_u32_e32 v7, s25
	s_sub_u32 s0, 0, s24
	s_subb_u32 s26, 0, s25
	v_fmac_f32_e32 v6, 0x4f800000, v7
	v_rcp_f32_e32 v6, v6
	v_mul_f32_e32 v6, 0x5f7ffffc, v6
	v_mul_f32_e32 v7, 0x2f800000, v6
	v_trunc_f32_e32 v7, v7
	v_fmac_f32_e32 v6, 0xcf800000, v7
	v_cvt_u32_f32_e32 v7, v7
	v_cvt_u32_f32_e32 v6, v6
	v_mul_lo_u32 v8, s0, v7
	v_mul_hi_u32 v11, s0, v6
	v_mul_lo_u32 v12, s26, v6
	v_add_nc_u32_e32 v8, v11, v8
	v_mul_lo_u32 v11, s0, v6
	v_add_nc_u32_e32 v8, v8, v12
	v_mul_hi_u32 v12, v6, v11
	v_mul_lo_u32 v13, v6, v8
	v_mul_hi_u32 v14, v6, v8
	v_mul_hi_u32 v15, v7, v11
	v_mul_lo_u32 v11, v7, v11
	v_mul_hi_u32 v16, v7, v8
	v_mul_lo_u32 v8, v7, v8
	v_add_co_u32 v12, vcc_lo, v12, v13
	v_add_co_ci_u32_e32 v13, vcc_lo, 0, v14, vcc_lo
	v_add_co_u32 v11, vcc_lo, v12, v11
	v_add_co_ci_u32_e32 v11, vcc_lo, v13, v15, vcc_lo
	v_add_co_ci_u32_e32 v12, vcc_lo, 0, v16, vcc_lo
	v_add_co_u32 v8, vcc_lo, v11, v8
	v_add_co_ci_u32_e32 v11, vcc_lo, 0, v12, vcc_lo
	v_add_co_u32 v6, vcc_lo, v6, v8
	v_add_co_ci_u32_e32 v7, vcc_lo, v7, v11, vcc_lo
	v_mul_hi_u32 v8, s0, v6
	v_mul_lo_u32 v12, s26, v6
	v_mul_lo_u32 v11, s0, v7
	v_add_nc_u32_e32 v8, v8, v11
	v_mul_lo_u32 v11, s0, v6
	v_add_nc_u32_e32 v8, v8, v12
	v_mul_hi_u32 v12, v6, v11
	v_mul_lo_u32 v13, v6, v8
	v_mul_hi_u32 v14, v6, v8
	v_mul_hi_u32 v15, v7, v11
	v_mul_lo_u32 v11, v7, v11
	v_mul_hi_u32 v16, v7, v8
	v_mul_lo_u32 v8, v7, v8
	v_add_co_u32 v12, vcc_lo, v12, v13
	v_add_co_ci_u32_e32 v13, vcc_lo, 0, v14, vcc_lo
	v_add_co_u32 v11, vcc_lo, v12, v11
	v_add_co_ci_u32_e32 v11, vcc_lo, v13, v15, vcc_lo
	v_add_co_ci_u32_e32 v12, vcc_lo, 0, v16, vcc_lo
	v_add_co_u32 v8, vcc_lo, v11, v8
	v_add_co_ci_u32_e32 v11, vcc_lo, 0, v12, vcc_lo
	v_add_co_u32 v8, vcc_lo, v6, v8
	v_add_co_ci_u32_e32 v13, vcc_lo, v7, v11, vcc_lo
	v_mul_hi_u32 v15, v9, v8
	v_mad_u64_u32 v[11:12], null, v10, v8, 0
	v_mad_u64_u32 v[6:7], null, v9, v13, 0
	;; [unrolled: 1-line block ×3, first 2 shown]
	v_add_co_u32 v6, vcc_lo, v15, v6
	v_add_co_ci_u32_e32 v7, vcc_lo, 0, v7, vcc_lo
	v_add_co_u32 v6, vcc_lo, v6, v11
	v_add_co_ci_u32_e32 v6, vcc_lo, v7, v12, vcc_lo
	v_add_co_ci_u32_e32 v7, vcc_lo, 0, v14, vcc_lo
	v_add_co_u32 v11, vcc_lo, v6, v13
	v_add_co_ci_u32_e32 v8, vcc_lo, 0, v7, vcc_lo
	v_mul_lo_u32 v12, s25, v11
	v_mad_u64_u32 v[6:7], null, s24, v11, 0
	v_mul_lo_u32 v13, s24, v8
	v_sub_co_u32 v6, vcc_lo, v9, v6
	v_add3_u32 v7, v7, v13, v12
	v_sub_nc_u32_e32 v12, v10, v7
	v_subrev_co_ci_u32_e64 v12, s0, s25, v12, vcc_lo
	v_add_co_u32 v13, s0, v11, 2
	v_add_co_ci_u32_e64 v14, s0, 0, v8, s0
	v_sub_co_u32 v15, s0, v6, s24
	v_sub_co_ci_u32_e32 v7, vcc_lo, v10, v7, vcc_lo
	v_subrev_co_ci_u32_e64 v12, s0, 0, v12, s0
	v_cmp_le_u32_e32 vcc_lo, s24, v15
	v_cmp_eq_u32_e64 s0, s25, v7
	v_cndmask_b32_e64 v15, 0, -1, vcc_lo
	v_cmp_le_u32_e32 vcc_lo, s25, v12
	v_cndmask_b32_e64 v16, 0, -1, vcc_lo
	v_cmp_le_u32_e32 vcc_lo, s24, v6
	;; [unrolled: 2-line block ×3, first 2 shown]
	v_cndmask_b32_e64 v17, 0, -1, vcc_lo
	v_cmp_eq_u32_e32 vcc_lo, s25, v12
	v_cndmask_b32_e64 v6, v17, v6, s0
	v_cndmask_b32_e32 v12, v16, v15, vcc_lo
	v_add_co_u32 v15, vcc_lo, v11, 1
	v_add_co_ci_u32_e32 v16, vcc_lo, 0, v8, vcc_lo
	v_cmp_ne_u32_e32 vcc_lo, 0, v12
	v_cndmask_b32_e32 v7, v16, v14, vcc_lo
	v_cndmask_b32_e32 v12, v15, v13, vcc_lo
	v_cmp_ne_u32_e32 vcc_lo, 0, v6
	v_cndmask_b32_e32 v8, v8, v7, vcc_lo
	v_cndmask_b32_e32 v7, v11, v12, vcc_lo
.LBB0_4:                                ;   in Loop: Header=BB0_2 Depth=1
	s_andn2_saveexec_b32 s0, s1
	s_cbranch_execz .LBB0_6
; %bb.5:                                ;   in Loop: Header=BB0_2 Depth=1
	v_cvt_f32_u32_e32 v6, s24
	s_sub_i32 s1, 0, s24
	v_rcp_iflag_f32_e32 v6, v6
	v_mul_f32_e32 v6, 0x4f7ffffe, v6
	v_cvt_u32_f32_e32 v6, v6
	v_mul_lo_u32 v7, s1, v6
	v_mul_hi_u32 v7, v6, v7
	v_add_nc_u32_e32 v6, v6, v7
	v_mul_hi_u32 v6, v9, v6
	v_mul_lo_u32 v7, v6, s24
	v_add_nc_u32_e32 v8, 1, v6
	v_sub_nc_u32_e32 v7, v9, v7
	v_subrev_nc_u32_e32 v11, s24, v7
	v_cmp_le_u32_e32 vcc_lo, s24, v7
	v_cndmask_b32_e32 v7, v7, v11, vcc_lo
	v_cndmask_b32_e32 v6, v6, v8, vcc_lo
	v_cmp_le_u32_e32 vcc_lo, s24, v7
	v_add_nc_u32_e32 v8, 1, v6
	v_cndmask_b32_e32 v7, v6, v8, vcc_lo
	v_mov_b32_e32 v8, v5
.LBB0_6:                                ;   in Loop: Header=BB0_2 Depth=1
	s_or_b32 exec_lo, exec_lo, s0
	v_mul_lo_u32 v6, v8, s24
	v_mul_lo_u32 v13, v7, s25
	s_load_dwordx2 s[0:1], s[6:7], 0x0
	v_mad_u64_u32 v[11:12], null, v7, s24, 0
	s_load_dwordx2 s[24:25], s[2:3], 0x0
	s_add_u32 s22, s22, 1
	s_addc_u32 s23, s23, 0
	s_add_u32 s2, s2, 8
	s_addc_u32 s3, s3, 0
	s_add_u32 s6, s6, 8
	v_add3_u32 v6, v12, v13, v6
	v_sub_co_u32 v9, vcc_lo, v9, v11
	s_addc_u32 s7, s7, 0
	s_add_u32 s20, s20, 8
	v_sub_co_ci_u32_e32 v6, vcc_lo, v10, v6, vcc_lo
	s_addc_u32 s21, s21, 0
	s_waitcnt lgkmcnt(0)
	v_mul_lo_u32 v10, s0, v6
	v_mul_lo_u32 v11, s1, v9
	v_mad_u64_u32 v[1:2], null, s0, v9, v[1:2]
	v_mul_lo_u32 v6, s24, v6
	v_mul_lo_u32 v12, s25, v9
	v_mad_u64_u32 v[3:4], null, s24, v9, v[3:4]
	v_cmp_ge_u64_e64 s0, s[22:23], s[14:15]
	v_add3_u32 v2, v11, v2, v10
	v_add3_u32 v4, v12, v4, v6
	s_and_b32 vcc_lo, exec_lo, s0
	s_cbranch_vccnz .LBB0_9
; %bb.7:                                ;   in Loop: Header=BB0_2 Depth=1
	v_mov_b32_e32 v10, v8
	v_mov_b32_e32 v9, v7
	s_branch .LBB0_2
.LBB0_8:
	v_mov_b32_e32 v4, v2
	v_mov_b32_e32 v7, v9
	;; [unrolled: 1-line block ×4, first 2 shown]
.LBB0_9:
	s_load_dwordx2 s[0:1], s[4:5], 0x28
	v_mul_hi_u32 v5, 0x183c978, v0
	s_lshl_b64 s[4:5], s[14:15], 3
	v_mov_b32_e32 v9, 0
	v_mov_b32_e32 v24, 0
	s_add_u32 s2, s18, s4
	s_addc_u32 s3, s19, s5
                                        ; implicit-def: $vgpr31
                                        ; implicit-def: $vgpr14
                                        ; implicit-def: $vgpr30
                                        ; implicit-def: $vgpr15
                                        ; implicit-def: $vgpr29
                                        ; implicit-def: $vgpr12
                                        ; implicit-def: $vgpr28
                                        ; implicit-def: $vgpr13
                                        ; implicit-def: $vgpr27
                                        ; implicit-def: $vgpr11
                                        ; implicit-def: $vgpr26
                                        ; implicit-def: $vgpr6
                                        ; implicit-def: $vgpr32
                                        ; implicit-def: $vgpr21
                                        ; implicit-def: $vgpr20
                                        ; implicit-def: $vgpr22
                                        ; implicit-def: $vgpr19
                                        ; implicit-def: $vgpr23
                                        ; implicit-def: $vgpr17
                                        ; implicit-def: $vgpr25
                                        ; implicit-def: $vgpr16
                                        ; implicit-def: $vgpr18
	v_mul_u32_u24_e32 v5, 0xa9, v5
	v_sub_nc_u32_e32 v5, v0, v5
                                        ; implicit-def: $vgpr0
	v_cmp_gt_u32_e32 vcc_lo, 0x8f, v5
	s_waitcnt lgkmcnt(0)
	v_cmp_gt_u64_e64 s0, s[0:1], v[7:8]
	s_and_b32 s6, s0, vcc_lo
	s_and_saveexec_b32 s1, s6
	s_cbranch_execz .LBB0_11
; %bb.10:
	s_add_u32 s4, s16, s4
	s_addc_u32 s5, s17, s5
	s_load_dwordx2 s[4:5], s[4:5], 0x0
	s_waitcnt lgkmcnt(0)
	v_mul_lo_u32 v0, s5, v7
	v_mul_lo_u32 v6, s4, v8
	v_mad_u64_u32 v[9:10], null, s4, v7, 0
	v_add3_u32 v10, v10, v6, v0
	v_mov_b32_e32 v6, 0
	v_lshlrev_b64 v[0:1], 2, v[1:2]
	v_lshlrev_b64 v[9:10], 2, v[9:10]
	v_add_co_u32 v2, s0, s8, v9
	v_add_co_ci_u32_e64 v11, s0, s9, v10, s0
	v_lshlrev_b64 v[9:10], 2, v[5:6]
	v_add_co_u32 v0, s0, v2, v0
	v_add_co_ci_u32_e64 v1, s0, v11, v1, s0
	v_add_co_u32 v0, s0, v0, v9
	v_add_co_ci_u32_e64 v1, s0, v1, v10, s0
	;; [unrolled: 2-line block ×5, first 2 shown]
	s_clause 0xc
	global_load_dword v9, v[0:1], off
	global_load_dword v14, v[0:1], off offset:572
	global_load_dword v15, v[0:1], off offset:1144
	;; [unrolled: 1-line block ×12, first 2 shown]
	s_waitcnt vmcnt(11)
	v_lshrrev_b32_e32 v31, 16, v14
	s_waitcnt vmcnt(10)
	v_lshrrev_b32_e32 v30, 16, v15
	;; [unrolled: 2-line block ×11, first 2 shown]
	s_waitcnt vmcnt(0)
	v_perm_b32 v24, v9, v18, 0x7060302
.LBB0_11:
	s_or_b32 exec_lo, exec_lo, s1
	v_add_f16_e32 v39, v14, v32
	v_sub_f16_e32 v38, v31, v0
	v_add_f16_e32 v37, v15, v20
	v_sub_f16_e32 v40, v30, v21
	v_add_f16_e32 v41, v12, v19
	v_pk_mul_f16 v35, 0x3b15388b, v39 op_sel_hi:[1,0]
	v_sub_f16_e32 v42, v29, v22
	v_pk_mul_f16 v36, 0x388bb5ac, v37 op_sel_hi:[1,0]
	v_add_f16_e32 v43, v13, v17
	v_pk_mul_f16 v1, 0x2fb7bbc4, v41 op_sel_hi:[1,0]
	v_pk_fma_f16 v2, 0xb770ba95, v38, v35 op_sel_hi:[1,0,1]
	v_sub_f16_e32 v44, v28, v23
	v_pk_fma_f16 v10, 0xba95bb7b, v40, v36 op_sel_hi:[1,0,1]
	v_add_f16_e32 v45, v11, v16
	v_pk_fma_f16 v34, 0xbbf1b3a8, v42, v1 op_sel_hi:[1,0,1]
	v_pk_add_f16 v33, v9, v2 op_sel_hi:[0,1]
	v_pk_mul_f16 v2, 0xb5acb9fd, v43 op_sel_hi:[1,0]
	v_sub_f16_e32 v46, v27, v25
	v_add_f16_e32 v48, v6, v18
	v_sub_f16_e32 v47, v26, v24
	v_pk_add_f16 v10, v33, v10
	v_pk_mul_f16 v33, 0xb9fd2fb7, v45 op_sel_hi:[1,0]
	v_pk_fma_f16 v49, 0xbb7b394e, v44, v2 op_sel_hi:[1,0,1]
	v_pk_add_f16 v10, v10, v34
	v_pk_fma_f16 v50, 0xb94e3bf1, v46, v33 op_sel_hi:[1,0,1]
	v_pk_mul_f16 v34, 0xbbc43b15, v48 op_sel_hi:[1,0]
	v_pk_add_f16 v10, v10, v49
	v_pk_fma_f16 v49, 0xb3a83770, v47, v34 op_sel_hi:[1,0,1]
	v_pk_add_f16 v10, v10, v50
	v_pk_add_f16 v10, v10, v49
	s_and_saveexec_b32 s0, vcc_lo
	s_cbranch_execz .LBB0_13
; %bb.12:
	v_add_f16_e32 v49, v9, v14
	v_pack_b32_f16 v50, v38, v38
	v_pk_mul_f16 v38, 0xb770ba95, v38 op_sel_hi:[1,0]
	v_pack_b32_f16 v39, v39, v39
	v_perm_b32 v9, v9, v9, 0x5040100
	v_add_f16_e32 v49, v49, v15
	v_pack_b32_f16 v51, v40, v40
	v_pk_mul_f16 v40, 0xba95bb7b, v40 op_sel_hi:[1,0]
	v_pk_add_f16 v35, v35, v38 neg_lo:[0,1] neg_hi:[0,1]
	v_pack_b32_f16 v37, v37, v37
	v_add_f16_e32 v49, v49, v12
	v_pk_mul_f16 v56, 0xbbc4b9fd, v39
	v_pk_mul_f16 v39, 0xb5ac2fb7, v39
	v_pack_b32_f16 v52, v42, v42
	v_pk_mul_f16 v42, 0xbbf1b3a8, v42 op_sel_hi:[1,0]
	v_add_f16_e32 v49, v49, v13
	v_pk_add_f16 v36, v36, v40 neg_lo:[0,1] neg_hi:[0,1]
	v_pk_add_f16 v35, v9, v35
	v_pack_b32_f16 v41, v41, v41
	v_pk_mul_f16 v57, 0x3b152fb7, v37
	v_add_f16_e32 v49, v49, v11
	v_pk_mul_f16 v37, 0xb9fdbbc4, v37
	v_pack_b32_f16 v53, v44, v44
	v_pk_mul_f16 v44, 0xbb7b394e, v44 op_sel_hi:[1,0]
	v_pk_add_f16 v35, v35, v36
	v_add_f16_e32 v49, v49, v6
	v_pk_add_f16 v1, v1, v42 neg_lo:[0,1] neg_hi:[0,1]
	v_pack_b32_f16 v43, v43, v43
	v_pk_mul_f16 v58, 0xb9fd388b, v41
	v_pk_mul_f16 v41, 0x3b15b5ac, v41
	v_add_f16_e32 v49, v49, v18
	v_pk_fma_f16 v42, 0x394eb3a8, v51, v37 neg_lo:[0,1,0] neg_hi:[0,1,0]
	v_pack_b32_f16 v54, v46, v46
	v_pk_mul_f16 v46, 0xb94e3bf1, v46 op_sel_hi:[1,0]
	v_pk_add_f16 v1, v35, v1
	v_add_f16_e32 v40, v16, v49
	v_pk_fma_f16 v49, 0xbb7bbbf1, v50, v39 neg_lo:[0,1,0] neg_hi:[0,1,0]
	v_pk_add_f16 v2, v2, v44 neg_lo:[0,1] neg_hi:[0,1]
	v_pack_b32_f16 v45, v45, v45
	v_pk_mul_f16 v59, 0x388bbbc4, v43
	v_pk_mul_f16 v43, 0x2fb73b15, v43
	v_pk_add_f16 v36, v9, v49
	v_pack_b32_f16 v55, v47, v47
	v_pk_mul_f16 v47, 0xb3a83770, v47 op_sel_hi:[1,0]
	v_pk_add_f16 v1, v1, v2
	v_pk_add_f16 v2, v33, v46 neg_lo:[0,1] neg_hi:[0,1]
	v_pk_add_f16 v35, v36, v42
	v_pk_fma_f16 v36, 0x37703b7b, v52, v41 neg_lo:[0,1,0] neg_hi:[0,1,0]
	v_pk_mul_f16 v42, 0xbbc4388b, v45
	v_pk_fma_f16 v37, 0x394eb3a8, v51, v37
	v_pk_add_f16 v1, v1, v2
	v_pk_add_f16 v2, v34, v47 neg_lo:[0,1] neg_hi:[0,1]
	v_pk_add_f16 v33, v35, v36
	v_pk_fma_f16 v35, 0xbbf13770, v53, v43 neg_lo:[0,1,0] neg_hi:[0,1,0]
	v_pk_fma_f16 v34, 0x33a8ba95, v54, v42 neg_lo:[0,1,0] neg_hi:[0,1,0]
	v_pack_b32_f16 v48, v48, v48
	v_pk_add_f16 v1, v1, v2
	v_pk_fma_f16 v2, 0xbb7bbbf1, v50, v39
	v_pk_add_f16 v33, v33, v35
	v_pk_fma_f16 v35, 0xb3a8b94e, v50, v56
	v_pk_fma_f16 v39, 0x37703bf1, v51, v57
	v_pk_mul_f16 v60, 0xb5ac3b15, v45
	v_pk_add_f16 v2, v9, v2
	v_pk_add_f16 v34, v33, v34
	v_pk_fma_f16 v33, 0xb3a8b94e, v50, v56 neg_lo:[0,1,0] neg_hi:[0,1,0]
	v_pk_add_f16 v35, v9, v35
	v_add_f16_e32 v40, v17, v40
	v_pk_add_f16 v2, v2, v37
	v_pk_fma_f16 v37, 0x37703b7b, v52, v41
	v_pk_add_f16 v9, v9, v33
	v_pk_fma_f16 v33, 0x37703bf1, v51, v57 neg_lo:[0,1,0] neg_hi:[0,1,0]
	v_pk_add_f16 v35, v35, v39
	v_pk_fma_f16 v39, 0xb94eba95, v52, v58
	v_pk_add_f16 v2, v2, v37
	v_pk_fma_f16 v37, 0xbbf13770, v53, v43
	v_pk_add_f16 v9, v9, v33
	v_pk_fma_f16 v33, 0xb94eba95, v52, v58 neg_lo:[0,1,0] neg_hi:[0,1,0]
	v_pk_add_f16 v35, v35, v39
	v_pk_fma_f16 v39, 0x3a9533a8, v53, v59
	v_pk_mul_f16 v38, 0x2fb7b5ac, v48
	v_pk_mul_f16 v36, 0x388bb9fd, v48
	v_pk_add_f16 v9, v9, v33
	v_pk_fma_f16 v33, 0x3a9533a8, v53, v59 neg_lo:[0,1,0] neg_hi:[0,1,0]
	v_pk_add_f16 v35, v35, v39
	v_pk_fma_f16 v39, 0xbb7b3770, v54, v60
	v_pk_add_f16 v2, v2, v37
	v_pk_fma_f16 v37, 0x33a8ba95, v54, v42
	v_add_f16_e32 v40, v19, v40
	v_pk_add_f16 v9, v9, v33
	v_pk_fma_f16 v33, 0xbb7b3770, v54, v60 neg_lo:[0,1,0] neg_hi:[0,1,0]
	v_pk_add_f16 v35, v35, v39
	v_pk_fma_f16 v39, 0x3bf1bb7b, v55, v38
	v_pk_add_f16 v2, v2, v37
	v_pk_fma_f16 v37, 0x3a95b94e, v55, v36
	v_add_f16_e32 v40, v20, v40
	v_pk_fma_f16 v36, 0x3a95b94e, v55, v36 neg_lo:[0,1,0] neg_hi:[0,1,0]
	v_pk_add_f16 v9, v9, v33
	v_pk_fma_f16 v38, 0x3bf1bb7b, v55, v38 neg_lo:[0,1,0] neg_hi:[0,1,0]
	v_pk_add_f16 v39, v35, v39
	v_pk_add_f16 v2, v2, v37
	v_add_f16_e32 v40, v32, v40
	v_mad_u32_u24 v44, v5, 26, 0
	v_alignbit_b32 v33, v1, v1, 16
	v_pk_add_f16 v34, v34, v36
	v_pk_add_f16 v35, v9, v38
	v_alignbit_b32 v36, v39, v39, 16
	v_alignbit_b32 v9, v2, v2, 16
	ds_write_b16 v44, v40
	ds_write_b128 v44, v[33:36] offset:2
	ds_write_b64 v44, v[9:10] offset:18
.LBB0_13:
	s_or_b32 exec_lo, exec_lo, s0
	v_sub_f16_e32 v48, v14, v32
	v_add_f16_e32 v47, v31, v0
	v_sub_f16_e32 v46, v15, v20
	v_add_f16_e32 v45, v30, v21
	v_sub_f16_e32 v44, v12, v19
	v_pk_mul_f16 v36, 0xb770ba95, v48 op_sel_hi:[1,0]
	v_add_f16_e32 v41, v29, v22
	v_pk_mul_f16 v35, 0xba95bb7b, v46 op_sel_hi:[1,0]
	v_sub_f16_e32 v39, v11, v16
	v_pk_mul_f16 v34, 0xbbf1b3a8, v44 op_sel_hi:[1,0]
	v_pk_fma_f16 v1, 0x3b15388b, v47, v36 op_sel_hi:[1,0,1] neg_lo:[0,0,1] neg_hi:[0,0,1]
	v_lshl_add_u32 v11, v5, 1, 0
	v_pk_fma_f16 v2, 0x388bb5ac, v45, v35 op_sel_hi:[1,0,1] neg_lo:[0,0,1] neg_hi:[0,0,1]
	v_sub_f16_e32 v43, v13, v17
	s_waitcnt lgkmcnt(0)
	v_pk_add_f16 v9, v24, v1 op_sel:[1,0]
	v_sub_f16_e32 v1, v6, v18
	v_pk_fma_f16 v6, 0x2fb7bbc4, v41, v34 op_sel_hi:[1,0,1] neg_lo:[0,0,1] neg_hi:[0,0,1]
	s_barrier
	buffer_gl0_inv
	v_pk_add_f16 v2, v9, v2
	v_add_f16_e32 v42, v28, v23
	v_pk_mul_f16 v38, 0xbb7b394e, v43 op_sel_hi:[1,0]
	v_add_f16_e32 v33, v27, v25
	v_pk_mul_f16 v37, 0xb94e3bf1, v39 op_sel_hi:[1,0]
	v_pk_add_f16 v2, v2, v6
	ds_read_u16 v6, v11
	ds_read_u16 v20, v11 offset:338
	ds_read_u16 v19, v11 offset:676
	;; [unrolled: 1-line block ×10, first 2 shown]
	v_pk_fma_f16 v40, 0xb5acb9fd, v42, v38 op_sel_hi:[1,0,1] neg_lo:[0,0,1] neg_hi:[0,0,1]
	v_add_f16_e32 v32, v26, v24
	v_pk_fma_f16 v49, 0xb9fd2fb7, v33, v37 op_sel_hi:[1,0,1] neg_lo:[0,0,1] neg_hi:[0,0,1]
	s_waitcnt lgkmcnt(0)
	s_barrier
	v_pk_add_f16 v2, v2, v40
	v_pk_mul_f16 v40, 0xb3a83770, v1 op_sel_hi:[1,0]
	buffer_gl0_inv
	v_pk_add_f16 v2, v2, v49
	v_pk_fma_f16 v49, 0xbbc43b15, v32, v40 op_sel_hi:[1,0,1] neg_lo:[0,0,1] neg_hi:[0,0,1]
	v_pk_add_f16 v2, v2, v49
	s_and_saveexec_b32 s0, vcc_lo
	s_cbranch_execz .LBB0_15
; %bb.14:
	v_add_f16_sdwa v31, v24, v31 dst_sel:DWORD dst_unused:UNUSED_PAD src0_sel:WORD_1 src1_sel:DWORD
	v_pk_mul_f16 v50, 0x3b15388b, v47 op_sel_hi:[1,0]
	v_mul_f16_e32 v66, 0x3770, v46
	v_pk_mul_f16 v54, 0x388bb5ac, v45 op_sel_hi:[1,0]
	v_mul_f16_e32 v70, 0xb94e, v44
	v_add_f16_e32 v30, v31, v30
	v_bfi_b32 v26, 0xffff, v26, v36
	v_fmamk_f16 v68, v45, 0x3b15, v66
	v_pack_b32_f16 v56, v41, v41
	v_pk_mul_f16 v31, 0x2fb7bbc4, v41 op_sel_hi:[1,0]
	v_add_f16_e32 v29, v30, v29
	v_fmamk_f16 v71, v41, 0xb9fd, v70
	v_mul_f16_e32 v72, 0x3a95, v43
	v_pack_b32_f16 v51, v48, v48
	v_perm_b32 v52, v24, v24, 0x7060302
	v_add_f16_e32 v28, v29, v28
	v_mul_f16_e32 v29, 0xb3a8, v48
	v_mul_f16_e32 v67, 0x2fb7, v47
	;; [unrolled: 1-line block ×3, first 2 shown]
	v_pack_b32_f16 v55, v46, v46
	v_add_f16_e32 v27, v28, v27
	v_fmamk_f16 v28, v47, 0xbbc4, v29
	v_pk_mul_f16 v59, 0xb5acb9fd, v42 op_sel_hi:[1,0]
	v_mul_f16_e32 v69, 0xbbc4, v45
	v_mul_f16_e32 v46, 0xb3a8, v46
	v_bfi_b32 v27, 0xffff, v27, v50
	v_add_f16_sdwa v28, v24, v28 dst_sel:DWORD dst_unused:UNUSED_PAD src0_sel:WORD_1 src1_sel:DWORD
	v_perm_b32 v36, v48, v36, 0x5040100
	v_pack_b32_f16 v57, v44, v44
	v_pk_mul_f16 v61, 0xb9fd2fb7, v33 op_sel_hi:[1,0]
	v_pk_add_f16 v26, v27, v26
	v_add_f16_e32 v28, v28, v68
	v_mul_f16_e32 v68, 0xb5ac, v41
	v_mul_f16_e32 v27, 0xb9fd, v41
	v_pk_add_f16 v41, v54, v35
	v_pk_add_f16 v24, v26, v24
	v_add_f16_e32 v28, v28, v71
	v_fmamk_f16 v71, v42, 0x388b, v72
	v_mul_f16_e32 v44, 0x3b7b, v44
	v_bfi_b32 v25, 0xffff, v25, v41
	v_perm_b32 v54, v69, v54, 0x5040100
	v_perm_b32 v35, v46, v35, 0x5040100
	v_add_f16_e32 v28, v28, v71
	v_pk_add_f16 v71, v31, v34
	v_pk_add_f16 v24, v25, v24
	v_perm_b32 v25, v67, v50, 0x5040100
	v_pack_b32_f16 v30, v43, v43
	v_pack_b32_f16 v62, v39, v39
	v_bfi_b32 v23, 0xffff, v23, v71
	v_mul_f16_e32 v26, 0x3b15, v42
	v_pk_add_f16 v25, v25, v36
	v_pk_add_f16 v36, v59, v38
	v_mul_f16_e32 v43, 0x3770, v43
	v_mul_f16_e32 v50, 0xba95, v39
	;; [unrolled: 1-line block ×3, first 2 shown]
	v_pk_add_f16 v23, v23, v24
	v_pk_add_f16 v24, v61, v37
	v_bfi_b32 v22, 0xffff, v22, v36
	v_pk_add_f16 v25, v52, v25
	v_pk_add_f16 v35, v54, v35
	v_perm_b32 v31, v68, v31, 0x5040100
	v_perm_b32 v34, v44, v34, 0x5040100
	v_pack_b32_f16 v58, v42, v42
	v_pack_b32_f16 v60, v33, v33
	v_mul_f16_e32 v41, 0x388b, v42
	v_mul_f16_e32 v42, 0x388b, v33
	;; [unrolled: 1-line block ×3, first 2 shown]
	v_fmamk_f16 v33, v33, 0xb5ac, v39
	v_pk_add_f16 v22, v22, v23
	v_bfi_b32 v21, 0xffff, v21, v24
	v_pk_add_f16 v23, v25, v35
	v_pk_add_f16 v24, v31, v34
	v_perm_b32 v25, v26, v59, 0x5040100
	v_perm_b32 v31, v43, v38, 0x5040100
	v_pack_b32_f16 v49, v47, v47
	v_pk_mul_f16 v64, 0xbbc43b15, v32 op_sel_hi:[1,0]
	v_add_f16_e32 v28, v28, v33
	v_pk_add_f16 v23, v23, v24
	v_pk_add_f16 v24, v25, v31
	v_perm_b32 v25, v42, v61, 0x5040100
	v_perm_b32 v31, v50, v37, 0x5040100
	v_mul_f16_e32 v33, 0xb9fd, v32
	v_mul_f16_e32 v34, 0xb94e, v1
	v_pk_mul_f16 v35, 0xb94ebb7b, v51
	v_pack_b32_f16 v53, v45, v45
	v_pk_add_f16 v21, v21, v22
	v_pk_add_f16 v22, v64, v40
	v_pk_add_f16 v23, v23, v24
	v_pk_add_f16 v24, v25, v31
	v_perm_b32 v25, v33, v64, 0x5040100
	v_perm_b32 v31, v34, v40, 0x5040100
	v_pk_fma_f16 v36, 0xb9fdb5ac, v49, v35
	v_pk_mul_f16 v37, 0x3bf1394e, v55
	v_bfi_b32 v0, 0xffff, v0, v22
	v_pk_add_f16 v22, v23, v24
	v_pk_add_f16 v23, v25, v31
	;; [unrolled: 1-line block ×3, first 2 shown]
	v_pk_fma_f16 v25, 0x2fb7b9fd, v53, v37
	v_pk_mul_f16 v31, 0xba953770, v57
	v_pk_mul_f16 v36, 0xb9fdb5ac, v49
	v_pk_add_f16 v21, v0, v21
	v_pk_add_f16 v22, v22, v23
	;; [unrolled: 1-line block ×3, first 2 shown]
	v_pk_fma_f16 v23, 0x388b3b15, v56, v31
	v_pack_b32_f16 v24, v36, v67
	v_pack_b32_f16 v25, v35, v48
	v_pk_mul_f16 v38, 0x2fb7b9fd, v53
	v_pk_mul_f16 v40, 0x388b3b15, v56
	v_pk_add_f16 v0, v0, v23
	v_pk_mul_f16 v23, 0x33a8bbf1, v30
	v_pk_add_f16 v24, v24, v25 neg_lo:[0,1] neg_hi:[0,1]
	v_pack_b32_f16 v25, v38, v69
	v_pack_b32_f16 v30, v37, v46
	v_mul_f16_e32 v47, 0xbbc4, v47
	v_pack_b32_f16 v44, v31, v44
	v_pk_add_f16 v24, v52, v24
	v_mul_f16_e32 v45, 0x3b15, v45
	v_pk_add_f16 v25, v25, v30 neg_lo:[0,1] neg_hi:[0,1]
	v_pack_b32_f16 v30, v40, v68
	v_pk_mul_f16 v46, 0xbbc42fb7, v58
	v_pk_fma_f16 v48, 0xbbc42fb7, v58, v23
	v_bfi_b32 v29, 0xffff, v29, v35
	v_pk_add_f16 v24, v24, v25
	v_pk_add_f16 v25, v30, v44 neg_lo:[0,1] neg_hi:[0,1]
	v_bfi_b32 v30, 0xffff, v47, v36
	v_pk_mul_f16 v49, 0x377033a8, v62
	v_pk_add_f16 v0, v0, v48
	v_pk_mul_f16 v48, 0x3b15bbc4, v60
	v_pack_b32_f16 v26, v46, v26
	v_pack_b32_f16 v35, v23, v43
	v_pk_add_f16 v24, v24, v25
	v_pk_add_f16 v25, v30, v29 neg_lo:[0,1] neg_hi:[0,1]
	v_bfi_b32 v29, 0xffff, v45, v38
	v_bfi_b32 v30, 0xffff, v66, v37
	v_pack_b32_f16 v63, v32, v32
	v_pk_add_f16 v26, v26, v35 neg_lo:[0,1] neg_hi:[0,1]
	v_pack_b32_f16 v35, v48, v42
	v_pack_b32_f16 v36, v49, v50
	v_pk_add_f16 v25, v52, v25
	v_pk_add_f16 v29, v29, v30 neg_lo:[0,1] neg_hi:[0,1]
	v_bfi_b32 v27, 0xffff, v27, v40
	v_bfi_b32 v30, 0xffff, v70, v31
	v_pack_b32_f16 v65, v1, v1
	v_pk_mul_f16 v31, 0xb5ac388b, v63
	v_pk_add_f16 v24, v24, v26
	v_pk_add_f16 v26, v35, v36 neg_lo:[0,1] neg_hi:[0,1]
	v_pk_add_f16 v25, v25, v29
	v_pk_add_f16 v27, v27, v30 neg_lo:[0,1] neg_hi:[0,1]
	v_bfi_b32 v29, 0xffff, v41, v46
	v_bfi_b32 v23, 0xffff, v72, v23
	v_pk_mul_f16 v30, 0xbb7b3a95, v65
	v_pk_add_f16 v24, v24, v26
	v_pack_b32_f16 v26, v31, v33
	v_pk_add_f16 v25, v25, v27
	v_pk_add_f16 v23, v29, v23 neg_lo:[0,1] neg_hi:[0,1]
	v_bfi_b32 v27, 0xffff, v71, v48
	v_bfi_b32 v29, 0xffff, v39, v49
	v_mul_f16_e32 v33, 0x2fb7, v32
	v_mul_f16_e32 v1, 0x3bf1, v1
	v_pk_fma_f16 v51, 0x3b15bbc4, v60, v49
	v_pack_b32_f16 v34, v30, v34
	v_pk_add_f16 v23, v25, v23
	v_pk_add_f16 v25, v27, v29 neg_lo:[0,1] neg_hi:[0,1]
	v_bfi_b32 v27, 0xffff, v33, v31
	v_bfi_b32 v29, 0xffff, v1, v30
	v_pk_add_f16 v0, v0, v51
	v_pk_add_f16 v26, v26, v34 neg_lo:[0,1] neg_hi:[0,1]
	v_pk_fma_f16 v30, 0xb5ac388b, v63, v30
	v_fmamk_f16 v31, v32, 0x2fb7, v1
	v_pk_add_f16 v25, v23, v25
	v_pk_add_f16 v27, v27, v29 neg_lo:[0,1] neg_hi:[0,1]
	v_pk_add_f16 v1, v24, v26
	v_pk_add_f16 v23, v0, v30
	v_mad_u32_u24 v24, v5, 24, v11
	v_add_f16_e32 v26, v28, v31
	v_pk_add_f16 v0, v25, v27
	ds_write_b96 v24, v[21:23]
	ds_write_b16 v24, v26 offset:12
	ds_write_b96 v24, v[0:2] offset:14
.LBB0_15:
	s_or_b32 exec_lo, exec_lo, s0
	v_and_b32_e32 v0, 0xff, v5
	v_mov_b32_e32 v21, 10
	s_load_dwordx2 s[0:1], s[2:3], 0x0
	s_waitcnt lgkmcnt(0)
	s_barrier
	v_mul_lo_u16 v0, 0x4f, v0
	buffer_gl0_inv
	v_mov_b32_e32 v22, 1
	v_lshrrev_b16 v0, 10, v0
	v_mul_lo_u16 v1, v0, 13
	v_sub_nc_u16 v1, v5, v1
	v_mul_u32_u24_sdwa v21, v1, v21 dst_sel:DWORD dst_unused:UNUSED_PAD src0_sel:BYTE_0 src1_sel:DWORD
	v_lshlrev_b32_e32 v21, 2, v21
	s_clause 0x2
	global_load_dwordx4 v[35:38], v21, s[12:13]
	global_load_dwordx4 v[39:42], v21, s[12:13] offset:16
	global_load_dwordx2 v[43:44], v21, s[12:13] offset:32
	v_mov_b32_e32 v21, 0x11e
	ds_read_u16 v31, v11 offset:338
	ds_read_u16 v32, v11 offset:676
	;; [unrolled: 1-line block ×7, first 2 shown]
	v_mul_u32_u24_sdwa v0, v0, v21 dst_sel:DWORD dst_unused:UNUSED_PAD src0_sel:WORD_0 src1_sel:DWORD
	v_lshlrev_b32_sdwa v21, v22, v1 dst_sel:DWORD dst_unused:UNUSED_PAD src0_sel:DWORD src1_sel:BYTE_0
	ds_read_u16 v1, v11
	ds_read_u16 v50, v11 offset:2704
	ds_read_u16 v51, v11 offset:3042
	;; [unrolled: 1-line block ×3, first 2 shown]
	s_waitcnt vmcnt(0) lgkmcnt(0)
	s_barrier
	buffer_gl0_inv
	v_add3_u32 v0, 0, v0, v21
	v_mul_f16_sdwa v33, v31, v35 dst_sel:DWORD dst_unused:UNUSED_PAD src0_sel:DWORD src1_sel:WORD_1
	v_mul_f16_sdwa v30, v20, v35 dst_sel:DWORD dst_unused:UNUSED_PAD src0_sel:DWORD src1_sel:WORD_1
	;; [unrolled: 1-line block ×7, first 2 shown]
	v_fma_f16 v34, v20, v35, -v33
	v_mul_f16_sdwa v54, v45, v37 dst_sel:DWORD dst_unused:UNUSED_PAD src0_sel:DWORD src1_sel:WORD_1
	v_mul_f16_sdwa v28, v18, v37 dst_sel:DWORD dst_unused:UNUSED_PAD src0_sel:DWORD src1_sel:WORD_1
	;; [unrolled: 1-line block ×9, first 2 shown]
	v_fmac_f16_e32 v30, v31, v35
	v_fma_f16 v33, v19, v36, -v53
	v_fmac_f16_e32 v29, v32, v36
	v_fma_f16 v35, v12, v42, -v59
	v_fma_f16 v36, v13, v44, -v61
	v_fmac_f16_e32 v21, v52, v44
	v_add_f16_e32 v12, v6, v34
	v_mul_f16_sdwa v56, v47, v39 dst_sel:DWORD dst_unused:UNUSED_PAD src0_sel:DWORD src1_sel:WORD_1
	v_mul_f16_sdwa v26, v16, v39 dst_sel:DWORD dst_unused:UNUSED_PAD src0_sel:DWORD src1_sel:WORD_1
	;; [unrolled: 1-line block ×3, first 2 shown]
	v_fma_f16 v31, v18, v37, -v54
	v_fmac_f16_e32 v28, v45, v37
	v_fma_f16 v20, v17, v38, -v55
	v_fmac_f16_e32 v27, v46, v38
	;; [unrolled: 2-line block ×3, first 2 shown]
	v_fmac_f16_e32 v23, v50, v42
	v_fma_f16 v9, v9, v43, -v60
	v_fmac_f16_e32 v22, v51, v43
	v_add_f16_e32 v13, v34, v36
	v_sub_f16_e32 v14, v30, v21
	v_add_f16_e32 v12, v12, v33
	v_mul_f16_sdwa v25, v15, v40 dst_sel:DWORD dst_unused:UNUSED_PAD src0_sel:DWORD src1_sel:WORD_1
	v_fma_f16 v18, v16, v39, -v56
	v_fmac_f16_e32 v26, v47, v39
	v_fma_f16 v19, v15, v40, -v57
	v_add_f16_e32 v15, v33, v9
	v_sub_f16_e32 v16, v29, v22
	v_sub_f16_e32 v37, v28, v23
	v_add_f16_e32 v38, v20, v32
	v_sub_f16_e32 v39, v27, v24
	v_mul_f16_e32 v42, 0xbbad, v13
	v_mul_f16_e32 v43, 0xb482, v14
	v_pk_mul_f16 v50, 0x36a63abb, v13 op_sel_hi:[1,0]
	v_pk_mul_f16 v51, 0xbb47b853, v14 op_sel_hi:[1,0]
	;; [unrolled: 1-line block ×3, first 2 shown]
	v_add_f16_e32 v12, v12, v31
	v_add_f16_e32 v17, v31, v35
	v_mul_f16_e32 v44, 0x3abb, v15
	v_mul_f16_e32 v45, 0x3853, v16
	v_mul_f16_e32 v47, 0xba0c, v37
	v_mul_f16_e32 v49, 0x3b47, v39
	v_pk_mul_f16 v52, 0xb93d36a6, v15 op_sel_hi:[1,0]
	v_pk_mul_f16 v53, 0xba0cbb47, v16 op_sel_hi:[1,0]
	;; [unrolled: 1-line block ×8, first 2 shown]
	v_fma_f16 v62, v13, 0xbbad, -v43
	v_pk_fma_f16 v73, 0xb93db08e, v13, v14 op_sel_hi:[1,0,1] neg_lo:[0,0,1] neg_hi:[0,0,1]
	v_pack_b32_f16 v42, v42, v50
	v_pack_b32_f16 v43, v43, v51
	v_add_f16_e32 v12, v12, v20
	v_fmac_f16_e32 v25, v48, v40
	v_mul_f16_e32 v46, 0xb93d, v17
	v_mul_f16_e32 v48, 0x36a6, v38
	v_pk_mul_f16 v54, 0xbbadb08e, v17 op_sel_hi:[1,0]
	v_fma_f16 v63, v15, 0x3abb, -v45
	v_fma_f16 v64, v17, 0xb93d, -v47
	;; [unrolled: 1-line block ×3, first 2 shown]
	v_pk_fma_f16 v66, 0x36a63abb, v13, v51 op_sel_hi:[1,0,1] neg_lo:[0,0,1] neg_hi:[0,0,1]
	v_add_f16_sdwa v67, v50, v51 dst_sel:DWORD dst_unused:UNUSED_PAD src0_sel:WORD_1 src1_sel:WORD_1
	v_pk_fma_f16 v68, 0xb93d36a6, v15, v53 op_sel_hi:[1,0,1] neg_lo:[0,0,1] neg_hi:[0,0,1]
	v_pk_fma_f16 v70, 0xbbadb08e, v17, v55 op_sel_hi:[1,0,1] neg_lo:[0,0,1] neg_hi:[0,0,1]
	;; [unrolled: 1-line block ×3, first 2 shown]
	v_pk_fma_f16 v13, 0xb93db08e, v13, v14 op_sel_hi:[1,0,1]
	v_pk_fma_f16 v14, 0xb08ebbad, v15, v16 op_sel_hi:[1,0,1] neg_lo:[0,0,1] neg_hi:[0,0,1]
	v_pk_fma_f16 v15, 0xb08ebbad, v15, v16 op_sel_hi:[1,0,1]
	v_pk_fma_f16 v16, 0x3abb36a6, v17, v37 op_sel_hi:[1,0,1] neg_lo:[0,0,1] neg_hi:[0,0,1]
	;; [unrolled: 2-line block ×3, first 2 shown]
	v_pk_fma_f16 v38, 0xbbad3abb, v38, v39 op_sel_hi:[1,0,1]
	v_add_f16_sdwa v39, v56, v57 dst_sel:DWORD dst_unused:UNUSED_PAD src0_sel:WORD_1 src1_sel:WORD_1
	v_pack_b32_f16 v44, v44, v52
	v_pack_b32_f16 v45, v45, v53
	;; [unrolled: 1-line block ×3, first 2 shown]
	v_pk_add_f16 v57, v6, v73 op_sel_hi:[0,1]
	v_pk_add_f16 v42, v42, v43
	v_add_f16_e32 v12, v12, v18
	v_add_f16_e32 v40, v18, v19
	v_sub_f16_e32 v41, v26, v25
	v_add_f16_sdwa v69, v52, v53 dst_sel:DWORD dst_unused:UNUSED_PAD src0_sel:WORD_1 src1_sel:WORD_1
	v_add_f16_sdwa v71, v54, v55 dst_sel:DWORD dst_unused:UNUSED_PAD src0_sel:WORD_1 src1_sel:WORD_1
	v_pack_b32_f16 v46, v46, v54
	v_pack_b32_f16 v47, v47, v55
	v_pack_b32_f16 v48, v48, v56
	v_add_f16_e32 v54, v6, v62
	v_pk_add_f16 v55, v6, v66 op_sel_hi:[0,1]
	v_add_f16_e32 v56, v6, v67
	v_pk_add_f16 v13, v6, v13 op_sel_hi:[0,1]
	v_pk_add_f16 v43, v44, v45
	v_pk_add_f16 v14, v14, v57
	v_pk_add_f16 v6, v6, v42 op_sel_hi:[0,1]
	v_add_f16_e32 v12, v12, v19
	v_pk_mul_f16 v58, 0x3abbbbad, v40 op_sel_hi:[1,0]
	v_pk_mul_f16 v59, 0x3853b482, v41 op_sel_hi:[1,0]
	;; [unrolled: 1-line block ×3, first 2 shown]
	v_mul_f16_e32 v61, 0xb08e, v40
	v_mul_f16_e32 v41, 0xbbeb, v41
	v_pk_add_f16 v44, v46, v47
	v_pk_add_f16 v45, v48, v49
	v_add_f16_e32 v46, v63, v54
	v_pk_add_f16 v47, v68, v55
	v_add_f16_e32 v48, v69, v56
	v_pk_add_f16 v13, v15, v13
	v_pk_add_f16 v14, v16, v14
	;; [unrolled: 1-line block ×3, first 2 shown]
	v_add_f16_e32 v12, v12, v32
	v_pk_fma_f16 v50, 0x3abbbbad, v40, v59 op_sel_hi:[1,0,1] neg_lo:[0,0,1] neg_hi:[0,0,1]
	v_pk_fma_f16 v52, 0x36a6b93d, v40, v60 op_sel_hi:[1,0,1] neg_lo:[0,0,1] neg_hi:[0,0,1]
	v_pk_fma_f16 v60, 0x36a6b93d, v40, v60 op_sel_hi:[1,0,1]
	v_fma_f16 v40, v40, 0xb08e, -v41
	v_pack_b32_f16 v53, v61, v58
	v_pack_b32_f16 v41, v41, v59
	v_add_f16_e32 v15, v64, v46
	v_pk_add_f16 v42, v70, v47
	v_add_f16_e32 v46, v71, v48
	v_pk_add_f16 v13, v17, v13
	v_pk_add_f16 v14, v37, v14
	;; [unrolled: 1-line block ×3, first 2 shown]
	v_add_f16_e32 v37, v12, v35
	v_add_f16_sdwa v51, v58, v59 dst_sel:DWORD dst_unused:UNUSED_PAD src0_sel:WORD_1 src1_sel:WORD_1
	v_pk_add_f16 v41, v53, v41
	v_add_f16_e32 v15, v65, v15
	v_pk_add_f16 v16, v72, v42
	v_add_f16_e32 v39, v39, v46
	v_pk_add_f16 v13, v38, v13
	v_pk_add_f16 v6, v45, v6
	v_add_f16_e32 v37, v37, v9
	v_pk_add_f16 v17, v50, v16
	v_add_f16_e32 v16, v51, v39
	v_pk_add_f16 v14, v52, v14
	v_pk_add_f16 v12, v60, v13
	v_add_f16_e32 v15, v40, v15
	v_pk_add_f16 v13, v41, v6
	v_add_f16_e32 v6, v37, v36
	ds_write_b16 v0, v17 offset:26
	ds_write_b16_d16_hi v0, v17 offset:52
	ds_write_b16 v0, v14 offset:78
	ds_write_b16_d16_hi v0, v14 offset:104
	;; [unrolled: 2-line block ×3, first 2 shown]
	ds_write_b16 v0, v12 offset:208
	ds_write_b16 v0, v16 offset:234
	;; [unrolled: 1-line block ×3, first 2 shown]
	ds_write_b16_d16_hi v0, v13 offset:260
	ds_write_b16 v0, v6
	s_waitcnt lgkmcnt(0)
	s_barrier
	buffer_gl0_inv
	s_and_saveexec_b32 s2, vcc_lo
	s_cbranch_execz .LBB0_17
; %bb.16:
	ds_read_u16 v12, v11 offset:2288
	ds_read_u16 v17, v11 offset:286
	;; [unrolled: 1-line block ×5, first 2 shown]
	ds_read_u16 v6, v11
	ds_read_u16 v15, v11 offset:1430
	s_waitcnt lgkmcnt(6)
	ds_read_u16_d16_hi v12, v11 offset:2002
	s_waitcnt lgkmcnt(6)
	ds_read_u16_d16_hi v17, v11 offset:572
	;; [unrolled: 2-line block ×3, first 2 shown]
	ds_read_u16 v16, v11 offset:2574
	s_waitcnt lgkmcnt(7)
	ds_read_u16_d16_hi v10, v11 offset:3432
	s_waitcnt lgkmcnt(7)
	ds_read_u16_d16_hi v13, v11 offset:2860
.LBB0_17:
	s_or_b32 exec_lo, exec_lo, s2
	v_add_f16_e32 v37, v1, v30
	v_sub_f16_e32 v33, v33, v9
	v_sub_f16_e32 v34, v34, v36
	v_add_f16_e32 v30, v30, v21
	v_add_f16_e32 v36, v29, v22
	;; [unrolled: 1-line block ×3, first 2 shown]
	v_sub_f16_e32 v31, v31, v35
	v_mul_f16_e32 v37, 0xb482, v34
	v_add_f16_e32 v35, v27, v24
	v_pk_mul_f16 v42, 0x36a63abb, v30 op_sel_hi:[1,0]
	v_add_f16_e32 v9, v9, v28
	v_add_f16_e32 v29, v28, v23
	v_fma_f16 v44, v30, 0xbbad, -v37
	v_pk_mul_f16 v43, 0xb93d36a6, v36 op_sel_hi:[1,0]
	v_pk_fma_f16 v48, 0xbb47b853, v34, v42 op_sel_hi:[1,0,1] neg_lo:[0,1,0] neg_hi:[0,1,0]
	v_add_f16_e32 v9, v9, v27
	v_mul_f16_e32 v27, 0x3853, v33
	v_add_f16_e32 v44, v1, v44
	v_add_f16_e32 v28, v26, v25
	v_pk_fma_f16 v42, 0xbb47b853, v34, v42 op_sel_hi:[1,0,1]
	v_add_f16_e32 v9, v9, v26
	v_fma_f16 v46, v36, 0x3abb, -v27
	v_sub_f16_e32 v20, v20, v32
	v_mul_f16_e32 v40, 0xba0c, v31
	v_pk_mul_f16 v45, 0xb08eb93d, v35 op_sel_hi:[1,0]
	v_add_f16_e32 v9, v9, v25
	v_pk_mul_f16 v25, 0xbbadb08e, v29 op_sel_hi:[1,0]
	v_add_f16_e32 v44, v46, v44
	v_pk_add_f16 v46, v1, v48 op_sel_hi:[0,1]
	v_pk_add_f16 v42, v1, v42 op_sel_hi:[0,1]
	v_add_f16_e32 v9, v9, v24
	v_fma_f16 v24, v29, 0xb93d, -v40
	v_sub_f16_e32 v19, v18, v19
	v_pk_mul_f16 v34, 0xba0cbbeb, v34 op_sel_hi:[1,0]
	v_mul_f16_e32 v32, 0xbbad, v30
	v_add_f16_e32 v9, v9, v23
	v_pk_fma_f16 v23, 0xba0cbb47, v33, v43 op_sel_hi:[1,0,1] neg_lo:[0,1,0] neg_hi:[0,1,0]
	v_add_f16_e32 v24, v24, v44
	v_pk_mul_f16 v44, 0xb08ebbad, v36 op_sel_hi:[1,0]
	v_mul_f16_e32 v38, 0x3abb, v36
	v_add_f16_e32 v9, v9, v22
	v_pk_fma_f16 v22, 0x3482bbeb, v31, v25 op_sel_hi:[1,0,1] neg_lo:[0,1,0] neg_hi:[0,1,0]
	v_pk_add_f16 v23, v23, v46
	v_pk_fma_f16 v25, 0x3482bbeb, v31, v25 op_sel_hi:[1,0,1]
	v_pk_mul_f16 v31, 0xb8533b47, v31 op_sel_hi:[1,0]
	v_add_f16_e32 v9, v9, v21
	v_pk_fma_f16 v21, 0xba0cbb47, v33, v43 op_sel_hi:[1,0,1]
	v_pk_add_f16 v18, v22, v23
	v_pk_fma_f16 v22, 0x3bebba0c, v20, v45 op_sel_hi:[1,0,1] neg_lo:[0,1,0] neg_hi:[0,1,0]
	v_pk_mul_f16 v23, 0x3abbbbad, v28 op_sel_hi:[1,0]
	v_pk_mul_f16 v33, 0x3beb3482, v33 op_sel_hi:[1,0]
	v_pk_add_f16 v21, v21, v42
	v_pk_mul_f16 v42, 0xb93db08e, v30 op_sel_hi:[1,0]
	v_pk_add_f16 v22, v22, v18
	v_pk_fma_f16 v30, 0xb93db08e, v30, v34 op_sel_hi:[1,0,1] neg_lo:[0,0,1] neg_hi:[0,0,1]
	v_pk_fma_f16 v43, 0x3853b482, v19, v23 op_sel_hi:[1,0,1] neg_lo:[0,1,0] neg_hi:[0,1,0]
	v_pk_add_f16 v18, v25, v21
	v_pk_fma_f16 v21, 0x3bebba0c, v20, v45 op_sel_hi:[1,0,1]
	v_add_f16_e32 v25, v34, v42
	v_pk_fma_f16 v36, 0xb08ebbad, v36, v33 op_sel_hi:[1,0,1] neg_lo:[0,0,1] neg_hi:[0,0,1]
	v_bfi_b32 v32, 0xffff, v32, v42
	v_mul_f16_e32 v39, 0xb93d, v29
	v_pk_add_f16 v18, v21, v18
	v_pk_fma_f16 v21, 0x3853b482, v19, v23 op_sel_hi:[1,0,1]
	v_add_f16_e32 v23, v1, v25
	v_pk_add_f16 v25, v1, v30 op_sel_hi:[0,1]
	v_add_f16_e32 v30, v33, v44
	v_mul_f16_e32 v26, 0x3b47, v20
	v_pk_add_f16 v18, v21, v18
	v_pk_mul_f16 v21, 0x3abb36a6, v29 op_sel_hi:[1,0]
	v_pk_add_f16 v25, v36, v25
	v_add_f16_e32 v23, v30, v23
	v_bfi_b32 v30, 0xffff, v37, v34
	v_pk_fma_f16 v29, 0x3abb36a6, v29, v31 op_sel_hi:[1,0,1] neg_lo:[0,0,1] neg_hi:[0,0,1]
	v_add_f16_e32 v34, v31, v21
	v_pk_mul_f16 v36, 0xbbad3abb, v35 op_sel_hi:[1,0]
	v_pk_mul_f16 v20, 0xb482b853, v20 op_sel_hi:[1,0]
	v_pk_add_f16 v30, v30, v32
	v_bfi_b32 v27, 0xffff, v27, v33
	v_bfi_b32 v32, 0xffff, v38, v44
	v_mul_f16_e32 v41, 0x36a6, v35
	v_add_f16_e32 v23, v34, v23
	v_pk_add_f16 v25, v29, v25
	v_add_f16_e32 v29, v20, v36
	v_pk_add_f16 v1, v1, v30 op_sel_hi:[0,1]
	v_pk_add_f16 v27, v27, v32
	v_bfi_b32 v30, 0xffff, v40, v31
	v_bfi_b32 v21, 0xffff, v39, v21
	v_fma_f16 v47, v35, 0x36a6, -v26
	v_add_f16_e32 v23, v29, v23
	v_pk_mul_f16 v29, 0x36a6b93d, v28 op_sel_hi:[1,0]
	v_pk_mul_f16 v31, 0x3b47ba0c, v19 op_sel_hi:[1,0]
	v_pk_add_f16 v1, v27, v1
	v_pk_add_f16 v21, v30, v21
	v_bfi_b32 v26, 0xffff, v26, v20
	v_bfi_b32 v27, 0xffff, v41, v36
	v_mul_f16_e32 v19, 0xbbeb, v19
	v_mul_f16_e32 v30, 0xb08e, v28
	v_pk_fma_f16 v20, 0xbbad3abb, v35, v20 op_sel_hi:[1,0,1] neg_lo:[0,0,1] neg_hi:[0,0,1]
	v_pk_add_f16 v1, v21, v1
	v_pk_add_f16 v21, v26, v27
	v_bfi_b32 v26, 0xffff, v19, v31
	v_bfi_b32 v27, 0xffff, v30, v29
	v_add_f16_e32 v24, v47, v24
	v_pk_add_f16 v20, v20, v25
	v_add_f16_e32 v25, v31, v29
	v_pk_fma_f16 v29, 0x36a6b93d, v28, v31 op_sel_hi:[1,0,1] neg_lo:[0,0,1] neg_hi:[0,0,1]
	v_pk_add_f16 v1, v21, v1
	v_pk_add_f16 v21, v26, v27
	v_fma_f16 v19, v28, 0xb08e, -v19
	v_pk_add_f16 v26, v43, v22
	v_add_f16_e32 v30, v25, v23
	v_pk_add_f16 v27, v29, v20
	v_pk_add_f16 v29, v21, v1
	v_add_f16_e32 v31, v19, v24
	s_waitcnt lgkmcnt(0)
	s_barrier
	buffer_gl0_inv
	ds_write_b16 v0, v9
	ds_write_b16 v0, v18 offset:26
	ds_write_b16_d16_hi v0, v18 offset:52
	ds_write_b16 v0, v30 offset:78
	ds_write_b16_d16_hi v0, v29 offset:104
	ds_write_b16 v0, v29 offset:130
	ds_write_b16 v0, v31 offset:156
	ds_write_b16_d16_hi v0, v27 offset:182
	ds_write_b16 v0, v27 offset:208
	ds_write_b16_d16_hi v0, v26 offset:234
	ds_write_b16 v0, v26 offset:260
	s_waitcnt lgkmcnt(0)
	s_barrier
	buffer_gl0_inv
	s_and_saveexec_b32 s2, vcc_lo
	s_cbranch_execnz .LBB0_20
; %bb.18:
	s_or_b32 exec_lo, exec_lo, s2
	s_and_saveexec_b32 s2, s6
	s_cbranch_execnz .LBB0_21
.LBB0_19:
	s_endpgm
.LBB0_20:
	ds_read_u16 v27, v11 offset:2288
	ds_read_u16 v18, v11 offset:286
	;; [unrolled: 1-line block ×5, first 2 shown]
	ds_read_u16 v9, v11
	ds_read_u16 v30, v11 offset:858
	s_waitcnt lgkmcnt(6)
	ds_read_u16_d16_hi v27, v11 offset:2002
	s_waitcnt lgkmcnt(6)
	ds_read_u16_d16_hi v18, v11 offset:572
	;; [unrolled: 2-line block ×3, first 2 shown]
	ds_read_u16 v31, v11 offset:1716
	s_waitcnt lgkmcnt(7)
	ds_read_u16_d16_hi v26, v11 offset:2574
	s_waitcnt lgkmcnt(7)
	ds_read_u16_d16_hi v2, v11 offset:3432
	s_or_b32 exec_lo, exec_lo, s2
	s_and_saveexec_b32 s2, s6
	s_cbranch_execz .LBB0_19
.LBB0_21:
	v_mul_u32_u24_e32 v0, 12, v5
	v_mul_lo_u32 v11, s1, v7
	v_mul_lo_u32 v8, s0, v8
	s_waitcnt lgkmcnt(0)
	v_lshrrev_b32_e32 v23, 16, v2
	v_lshrrev_b32_e32 v25, 16, v17
	v_lshlrev_b32_e32 v0, 2, v0
	v_lshrrev_b32_e32 v36, 16, v18
	v_lshrrev_b32_e32 v47, 16, v13
	;; [unrolled: 1-line block ×4, first 2 shown]
	s_clause 0x2
	global_load_dwordx4 v[32:35], v0, s[12:13] offset:520
	global_load_dwordx4 v[38:41], v0, s[12:13] offset:552
	;; [unrolled: 1-line block ×3, first 2 shown]
	v_mad_u64_u32 v[0:1], null, s0, v7, 0
	v_lshrrev_b32_e32 v7, 16, v10
	v_lshrrev_b32_e32 v53, 16, v27
	;; [unrolled: 1-line block ×4, first 2 shown]
	v_add3_u32 v1, v1, v8, v11
	v_lshlrev_b64 v[0:1], 2, v[0:1]
	s_waitcnt vmcnt(2)
	v_mul_f16_sdwa v8, v18, v32 dst_sel:DWORD dst_unused:UNUSED_PAD src0_sel:DWORD src1_sel:WORD_1
	s_waitcnt vmcnt(1)
	v_mul_f16_sdwa v11, v23, v41 dst_sel:DWORD dst_unused:UNUSED_PAD src0_sel:DWORD src1_sel:WORD_1
	v_mul_f16_sdwa v19, v7, v41 dst_sel:DWORD dst_unused:UNUSED_PAD src0_sel:DWORD src1_sel:WORD_1
	;; [unrolled: 1-line block ×10, first 2 shown]
	s_waitcnt vmcnt(0)
	v_mul_f16_sdwa v63, v29, v42 dst_sel:DWORD dst_unused:UNUSED_PAD src0_sel:DWORD src1_sel:WORD_1
	v_mul_f16_sdwa v65, v15, v42 dst_sel:DWORD dst_unused:UNUSED_PAD src0_sel:DWORD src1_sel:WORD_1
	;; [unrolled: 1-line block ×4, first 2 shown]
	v_fma_f16 v68, v17, v32, -v8
	v_fma_f16 v21, v7, v41, -v11
	v_fmac_f16_e32 v19, v23, v41
	v_fmac_f16_e32 v54, v18, v32
	v_mul_f16_sdwa v58, v26, v39 dst_sel:DWORD dst_unused:UNUSED_PAD src0_sel:DWORD src1_sel:WORD_1
	v_mul_f16_sdwa v59, v14, v34 dst_sel:DWORD dst_unused:UNUSED_PAD src0_sel:DWORD src1_sel:WORD_1
	;; [unrolled: 1-line block ×7, first 2 shown]
	v_fma_f16 v69, v25, v33, -v52
	v_fma_f16 v23, v10, v40, -v55
	v_fmac_f16_e32 v20, v2, v40
	v_fmac_f16_e32 v56, v36, v33
	;; [unrolled: 1-line block ×3, first 2 shown]
	v_fma_f16 v26, v16, v38, -v61
	v_fmac_f16_e32 v62, v49, v35
	v_fma_f16 v49, v15, v42, -v63
	v_fmac_f16_e32 v65, v29, v42
	;; [unrolled: 2-line block ×3, first 2 shown]
	v_sub_f16_e32 v31, v68, v21
	v_add_f16_e32 v16, v54, v19
	v_sub_f16_e32 v51, v54, v19
	v_add_f16_e32 v54, v9, v54
	v_mul_f16_sdwa v57, v30, v34 dst_sel:DWORD dst_unused:UNUSED_PAD src0_sel:DWORD src1_sel:WORD_1
	v_mul_f16_sdwa v28, v12, v45 dst_sel:DWORD dst_unused:UNUSED_PAD src0_sel:DWORD src1_sel:WORD_1
	v_fmac_f16_e32 v59, v30, v34
	v_fma_f16 v30, v12, v45, -v64
	v_fma_f16 v52, v13, v43, -v66
	v_sub_f16_e32 v32, v69, v23
	v_add_f16_e32 v18, v68, v21
	v_sub_f16_e32 v61, v56, v20
	v_add_f16_e32 v64, v6, v68
	v_mul_f16_e32 v66, 0xb3a8, v31
	v_mul_f16_e32 v71, 0xb3a8, v51
	v_add_f16_e32 v54, v54, v56
	v_fma_f16 v57, v14, v34, -v57
	v_fma_f16 v25, v47, v39, -v58
	v_fmac_f16_e32 v24, v50, v38
	v_fmac_f16_e32 v28, v27, v45
	;; [unrolled: 1-line block ×3, first 2 shown]
	v_add_f16_e32 v12, v56, v20
	v_add_f16_e32 v17, v69, v23
	v_mul_f16_e32 v67, 0x3770, v32
	v_mul_f16_e32 v72, 0x3770, v61
	;; [unrolled: 1-line block ×13, first 2 shown]
	v_add_f16_e32 v51, v64, v69
	v_fmamk_f16 v56, v16, 0xbbc4, v66
	v_fma_f16 v64, v18, 0xbbc4, -v71
	v_add_f16_e32 v54, v54, v59
	v_fma_f16 v47, v48, v35, -v60
	v_sub_f16_e32 v60, v57, v25
	v_add_f16_e32 v10, v62, v24
	v_add_f16_e32 v15, v57, v25
	v_sub_f16_e32 v53, v62, v24
	v_mul_f16_e32 v79, 0x3bf1, v61
	v_mul_f16_e32 v80, 0xbb7b, v31
	;; [unrolled: 1-line block ×9, first 2 shown]
	v_fmamk_f16 v61, v12, 0x3b15, v67
	v_fma_f16 v69, v17, 0x3b15, -v72
	v_fmamk_f16 v84, v16, 0xb9fd, v75
	v_add_f16_e32 v51, v51, v57
	v_fma_f16 v57, v18, 0xb5ac, -v82
	v_add_f16_e32 v56, v9, v56
	v_add_f16_e32 v54, v54, v62
	v_fma_f16 v62, v18, 0x2fb7, -v44
	v_add_f16_e32 v64, v6, v64
	v_add_f16_e32 v11, v59, v22
	v_sub_f16_e32 v50, v47, v26
	v_sub_f16_e32 v63, v59, v22
	v_add_f16_e32 v14, v47, v26
	v_fmamk_f16 v85, v12, 0x2fb7, v76
	v_fma_f16 v90, v17, 0xb9fd, -v83
	v_fmamk_f16 v59, v16, 0x2fb7, v48
	v_add_f16_e32 v47, v51, v47
	v_add_f16_e32 v84, v9, v84
	v_add_f16_e32 v61, v56, v61
	v_fma_f16 v56, v17, 0xbbc4, -v41
	v_add_f16_e32 v64, v64, v69
	v_fmamk_f16 v69, v16, 0x388b, v40
	v_add_f16_e32 v57, v6, v57
	v_add_f16_e32 v62, v6, v62
	v_fmamk_f16 v51, v12, 0xbbc4, v45
	v_add_f16_e32 v84, v84, v85
	v_fmamk_f16 v85, v12, 0xb5ac, v38
	v_add_f16_e32 v59, v9, v59
	v_add_f16_e32 v90, v57, v90
	v_fmamk_f16 v57, v16, 0x3b15, v34
	v_add_f16_e32 v69, v9, v69
	v_add_f16_e32 v62, v62, v56
	v_fma_f16 v56, v18, 0x3b15, -v32
	v_add_f16_e32 v94, v47, v49
	v_fma_f16 v47, v16, 0xbbc4, -v66
	v_fmac_f16_e32 v71, 0xbbc4, v18
	v_sub_f16_e32 v39, v49, v30
	v_add_f16_e32 v8, v65, v28
	v_add_f16_e32 v13, v49, v30
	v_sub_f16_e32 v43, v65, v28
	v_fma_f16 v86, v18, 0xb9fd, -v78
	v_add_f16_e32 v59, v59, v51
	v_fmamk_f16 v51, v12, 0x388b, v33
	v_add_f16_e32 v57, v9, v57
	v_add_f16_e32 v69, v69, v85
	v_fma_f16 v85, v17, 0x388b, -v31
	v_add_f16_e32 v56, v6, v56
	v_add_f16_e32 v65, v54, v65
	v_fma_f16 v49, v12, 0x3b15, -v67
	v_add_f16_e32 v47, v9, v47
	v_fmac_f16_e32 v72, 0x3b15, v17
	v_add_f16_e32 v54, v6, v71
	v_mul_f16_e32 v68, 0xb94e, v60
	v_mul_f16_e32 v77, 0xba95, v60
	v_fma_f16 v87, v17, 0x2fb7, -v79
	v_fmamk_f16 v88, v16, 0xb5ac, v80
	v_add_f16_e32 v86, v6, v86
	v_add_f16_e32 v91, v57, v51
	;; [unrolled: 1-line block ×3, first 2 shown]
	v_mul_f16_e32 v93, 0x3770, v60
	v_mul_f16_e32 v56, 0x3b7b, v60
	v_fma_f16 v51, v16, 0xb9fd, -v75
	v_add_f16_e32 v67, v47, v49
	v_add_f16_e32 v71, v54, v72
	v_mul_f16_e32 v54, 0xb3a8, v60
	v_mul_f16_e32 v47, 0xbbf1, v60
	v_fma_f16 v60, v16, 0xb5ac, -v80
	v_mul_f16_e32 v73, 0xb94e, v63
	v_fmamk_f16 v89, v12, 0xb9fd, v81
	v_add_f16_e32 v88, v9, v88
	v_add_f16_e32 v86, v86, v87
	v_fma_f16 v87, v18, 0x388b, -v36
	v_fma_f16 v66, v12, 0x2fb7, -v76
	v_add_f16_e32 v51, v9, v51
	v_fma_f16 v72, v12, 0xb9fd, -v81
	v_add_f16_e32 v60, v9, v60
	v_add_f16_e32 v88, v88, v89
	v_fma_f16 v89, v17, 0xb5ac, -v35
	v_add_f16_e32 v87, v6, v87
	v_add_f16_e32 v66, v51, v66
	v_mul_f16_e32 v51, 0xb3a8, v63
	v_fmac_f16_e32 v78, 0xb9fd, v18
	v_fmac_f16_e32 v82, 0xb5ac, v18
	v_add_f16_e32 v60, v60, v72
	v_fma_f16 v72, v15, 0xb9fd, -v73
	v_fmamk_f16 v80, v11, 0xb5ac, v56
	v_mul_f16_e32 v70, 0x3a95, v50
	v_add_f16_e32 v87, v87, v89
	v_mul_f16_e32 v92, 0xba95, v63
	v_mul_f16_e32 v95, 0x3770, v63
	;; [unrolled: 1-line block ×4, first 2 shown]
	v_fmac_f16_e32 v79, 0x2fb7, v17
	v_add_f16_e32 v63, v6, v78
	v_add_f16_e32 v75, v6, v82
	v_fmamk_f16 v76, v11, 0xb9fd, v68
	v_fmamk_f16 v78, v11, 0x388b, v77
	v_add_f16_e32 v64, v64, v72
	v_fmamk_f16 v72, v11, 0x3b15, v93
	v_fmamk_f16 v82, v11, 0xbbc4, v54
	v_add_f16_e32 v59, v59, v80
	v_fma_f16 v80, v15, 0xbbc4, -v51
	v_mul_f16_e32 v74, 0x3a95, v53
	v_mul_f16_e32 v89, 0x33a8, v50
	v_add_f16_e32 v63, v63, v79
	v_add_f16_e32 v61, v61, v76
	v_fma_f16 v76, v15, 0x388b, -v92
	v_add_f16_e32 v78, v84, v78
	v_fma_f16 v79, v15, 0x3b15, -v95
	v_add_f16_e32 v72, v88, v72
	v_add_f16_e32 v69, v69, v82
	v_fma_f16 v82, v15, 0x2fb7, -v49
	v_add_f16_e32 v80, v87, v80
	v_mul_f16_e32 v84, 0x33a8, v53
	v_fma_f16 v87, v11, 0x3b15, -v93
	v_fmamk_f16 v88, v10, 0x388b, v70
	v_add_f16_e32 v2, v46, v37
	v_sub_f16_e32 v29, v46, v37
	v_add_f16_e32 v76, v86, v76
	v_add_f16_e32 v79, v90, v79
	;; [unrolled: 1-line block ×3, first 2 shown]
	v_mul_f16_e32 v85, 0xbbf1, v50
	v_mul_f16_e32 v86, 0xbbf1, v53
	v_fma_f16 v68, v11, 0xb9fd, -v68
	v_fmac_f16_e32 v73, 0xb9fd, v15
	v_add_f16_e32 v46, v65, v46
	v_mul_f16_e32 v65, 0x3770, v50
	v_fma_f16 v77, v11, 0x388b, -v77
	v_add_f16_e32 v60, v60, v87
	v_fma_f16 v87, v14, 0x388b, -v74
	v_fmamk_f16 v90, v10, 0xbbc4, v89
	v_add_f16_e32 v61, v61, v88
	v_fma_f16 v88, v14, 0xbbc4, -v84
	v_sub_f16_e32 v27, v52, v42
	v_add_f16_e32 v7, v52, v42
	v_add_f16_e32 v52, v94, v52
	v_fma_f16 v81, v15, 0xb5ac, -v57
	v_add_f16_e32 v67, v67, v68
	v_mul_f16_e32 v68, 0x3770, v53
	v_add_f16_e32 v71, v71, v73
	v_mul_f16_e32 v73, 0x394e, v50
	v_add_f16_e32 v66, v66, v77
	v_mul_f16_e32 v77, 0x394e, v53
	v_add_f16_e32 v64, v64, v87
	v_fmamk_f16 v87, v10, 0x2fb7, v85
	v_add_f16_e32 v78, v78, v90
	v_fma_f16 v90, v14, 0x2fb7, -v86
	v_add_f16_e32 v76, v76, v88
	v_fmamk_f16 v88, v10, 0x3b15, v65
	v_add_f16_e32 v42, v52, v42
	v_add_f16_e32 v37, v46, v37
	v_mul_f16_e32 v58, 0xbb7b, v39
	v_fmac_f16_e32 v83, 0xb9fd, v17
	v_add_f16_e32 v62, v62, v81
	v_fmamk_f16 v81, v11, 0x2fb7, v47
	v_fmac_f16_e32 v92, 0x388b, v15
	v_mul_f16_e32 v50, 0xbb7b, v50
	v_mul_f16_e32 v53, 0xbb7b, v53
	v_add_f16_e32 v72, v72, v87
	v_fma_f16 v87, v14, 0x3b15, -v68
	v_add_f16_e32 v79, v79, v90
	v_fmamk_f16 v90, v10, 0xb9fd, v73
	v_add_f16_e32 v59, v59, v88
	v_fma_f16 v88, v14, 0xb9fd, -v77
	v_fma_f16 v89, v10, 0xbbc4, -v89
	v_add_f16_e32 v30, v30, v42
	v_add_f16_e32 v28, v28, v37
	v_mul_f16_e32 v55, 0xbb7b, v43
	v_add_f16_e32 v75, v75, v83
	v_mul_f16_e32 v83, 0x3770, v39
	v_add_f16_e32 v81, v91, v81
	v_add_f16_e32 v63, v63, v92
	;; [unrolled: 1-line block ×3, first 2 shown]
	v_fmamk_f16 v87, v10, 0xb5ac, v50
	v_add_f16_e32 v69, v69, v90
	v_fma_f16 v90, v14, 0xb5ac, -v53
	v_add_f16_e32 v80, v80, v88
	v_mul_f16_e32 v88, 0x3770, v43
	v_fmac_f16_e32 v84, 0xbbc4, v14
	v_fma_f16 v85, v10, 0x2fb7, -v85
	v_add_f16_e32 v66, v66, v89
	v_fmamk_f16 v89, v8, 0xb5ac, v58
	v_add_f16_e32 v26, v26, v30
	v_add_f16_e32 v24, v24, v28
	;; [unrolled: 1-line block ×3, first 2 shown]
	v_mul_f16_e32 v87, 0x33a8, v39
	v_add_f16_e32 v82, v82, v90
	v_mul_f16_e32 v90, 0x33a8, v43
	v_fma_f16 v70, v10, 0x388b, -v70
	v_mul_f16_e32 v52, 0xba95, v39
	v_fmac_f16_e32 v74, 0x388b, v14
	v_add_f16_e32 v63, v63, v84
	v_fma_f16 v84, v13, 0xb5ac, -v55
	v_add_f16_e32 v60, v60, v85
	v_fmamk_f16 v85, v8, 0x3b15, v83
	v_add_f16_e32 v61, v61, v89
	v_fma_f16 v89, v13, 0x3b15, -v88
	v_add_f16_e32 v25, v25, v26
	v_add_f16_e32 v22, v22, v24
	v_mul_f16_e32 v46, 0xba95, v43
	v_add_f16_e32 v67, v67, v70
	v_mul_f16_e32 v70, 0x3bf1, v39
	;; [unrolled: 2-line block ×3, first 2 shown]
	v_add_f16_e32 v64, v64, v84
	v_fmamk_f16 v84, v8, 0xbbc4, v87
	v_add_f16_e32 v78, v78, v85
	v_fma_f16 v85, v13, 0xbbc4, -v90
	v_add_f16_e32 v76, v76, v89
	v_fmamk_f16 v89, v8, 0x388b, v52
	v_fma_f16 v48, v16, 0x2fb7, -v48
	v_add_f16_e32 v23, v23, v25
	v_add_f16_e32 v20, v20, v22
	v_mul_f16_e32 v39, 0xb94e, v39
	v_mul_f16_e32 v43, 0xb94e, v43
	v_add_f16_e32 v72, v72, v84
	v_fma_f16 v84, v13, 0x388b, -v46
	v_add_f16_e32 v79, v79, v85
	v_fmamk_f16 v85, v8, 0x2fb7, v70
	v_add_f16_e32 v59, v59, v89
	v_fma_f16 v89, v13, 0x2fb7, -v74
	v_add_f16_e32 v21, v21, v23
	v_add_f16_e32 v19, v19, v20
	;; [unrolled: 1-line block ×3, first 2 shown]
	v_fma_f16 v23, v12, 0xbbc4, -v45
	v_add_f16_e32 v62, v62, v84
	v_fmamk_f16 v84, v8, 0xb9fd, v39
	v_add_f16_e32 v69, v69, v85
	v_fma_f16 v85, v13, 0xb9fd, -v43
	v_add_f16_e32 v80, v80, v89
	v_mul_f16_e32 v89, 0x3bf1, v27
	v_fmac_f16_e32 v55, 0xb5ac, v13
	v_add_f16_e32 v20, v20, v23
	v_fma_f16 v23, v11, 0xb5ac, -v56
	v_add_f16_e32 v81, v81, v84
	v_mul_f16_e32 v84, 0x3bf1, v29
	v_add_f16_e32 v82, v82, v85
	v_mul_f16_e32 v85, 0xbb7b, v27
	v_mul_f16_e32 v42, 0xbb7b, v29
	v_fma_f16 v58, v8, 0xb5ac, -v58
	v_fma_f16 v83, v8, 0x3b15, -v83
	v_fmac_f16_e32 v88, 0x3b15, v13
	v_add_f16_e32 v55, v71, v55
	v_fmamk_f16 v71, v2, 0x2fb7, v89
	v_add_f16_e32 v20, v20, v23
	v_fma_f16 v23, v10, 0x3b15, -v65
	v_mul_f16_e32 v37, 0x3a95, v27
	v_add_f16_e32 v58, v67, v58
	v_mul_f16_e32 v67, 0x3a95, v29
	v_add_f16_e32 v66, v66, v83
	v_fma_f16 v83, v7, 0x2fb7, -v84
	v_add_f16_e32 v63, v63, v88
	v_fmamk_f16 v88, v2, 0xb5ac, v85
	v_add_f16_e32 v61, v61, v71
	v_fma_f16 v71, v7, 0xb5ac, -v42
	v_add_f16_e32 v20, v20, v23
	v_fma_f16 v23, v8, 0x388b, -v52
	v_fma_f16 v40, v16, 0x388b, -v40
	v_add_f16_e32 v64, v64, v83
	v_mul_f16_e32 v83, 0xb94e, v27
	v_add_f16_e32 v78, v78, v88
	v_fmamk_f16 v88, v2, 0x388b, v37
	v_add_f16_e32 v71, v76, v71
	v_fma_f16 v76, v7, 0x388b, -v67
	v_fmac_f16_e32 v44, 0x2fb7, v18
	v_add_f16_e32 v20, v20, v23
	v_add_f16_e32 v23, v9, v40
	v_fma_f16 v38, v12, 0xb5ac, -v38
	v_fmac_f16_e32 v36, 0x388b, v18
	v_fma_f16 v16, v16, 0x3b15, -v34
	v_fmac_f16_e32 v32, 0x3b15, v18
	v_add_f16_e32 v72, v72, v88
	v_fmamk_f16 v88, v2, 0xb9fd, v83
	v_add_f16_e32 v76, v79, v76
	v_mul_f16_e32 v79, 0xb94e, v29
	v_add_f16_e32 v44, v6, v44
	v_add_f16_e32 v23, v23, v38
	v_fma_f16 v38, v11, 0xbbc4, -v54
	v_add_f16_e32 v36, v6, v36
	v_add_f16_e32 v9, v9, v16
	v_fma_f16 v12, v12, 0x388b, -v33
	v_add_f16_e32 v6, v6, v32
	v_fmac_f16_e32 v31, 0x388b, v17
	v_add_f16_e32 v59, v59, v88
	v_fma_f16 v88, v7, 0xb9fd, -v79
	v_fmac_f16_e32 v41, 0xbbc4, v17
	v_add_f16_e32 v23, v23, v38
	v_fma_f16 v38, v10, 0xb9fd, -v73
	v_add_f16_e32 v9, v9, v12
	v_fma_f16 v11, v11, 0x2fb7, -v47
	v_add_f16_e32 v6, v6, v31
	v_fmac_f16_e32 v49, 0x2fb7, v15
	v_add_f16_e32 v62, v62, v88
	v_mul_f16_e32 v88, 0x3770, v27
	v_add_f16_e32 v41, v44, v41
	v_fmac_f16_e32 v57, 0xb5ac, v15
	v_add_f16_e32 v23, v23, v38
	v_fma_f16 v34, v8, 0x2fb7, -v70
	v_add_f16_e32 v9, v9, v11
	v_fma_f16 v10, v10, 0xb5ac, -v50
	v_add_f16_e32 v6, v6, v49
	v_fmac_f16_e32 v53, 0xb5ac, v14
	v_fmamk_f16 v91, v2, 0x3b15, v88
	v_mul_f16_e32 v27, 0xb3a8, v27
	v_fma_f16 v87, v8, 0xbbc4, -v87
	v_add_f16_e32 v41, v41, v57
	v_fmac_f16_e32 v68, 0x3b15, v14
	v_add_f16_e32 v16, v23, v34
	v_fma_f16 v12, v2, 0x3b15, -v88
	v_add_f16_e32 v9, v9, v10
	v_fma_f16 v8, v8, 0xb9fd, -v39
	v_add_f16_e32 v6, v6, v53
	v_fmac_f16_e32 v43, 0xb9fd, v13
	v_add_f16_e32 v69, v69, v91
	v_mul_f16_e32 v91, 0x3770, v29
	v_mul_f16_e32 v29, 0xb3a8, v29
	v_fmac_f16_e32 v35, 0xb5ac, v17
	v_fmamk_f16 v28, v2, 0xbbc4, v27
	v_fma_f16 v30, v2, 0x2fb7, -v89
	v_fma_f16 v85, v2, 0xb5ac, -v85
	v_fma_f16 v37, v2, 0x388b, -v37
	v_add_f16_e32 v40, v41, v68
	v_fma_f16 v41, v2, 0xb9fd, -v83
	v_add_f16_e32 v10, v16, v12
	v_add_f16_e32 v8, v9, v8
	v_fma_f16 v9, v2, 0xbbc4, -v27
	v_add_f16_e32 v12, v6, v43
	v_mov_b32_e32 v6, 0
	v_lshlrev_b64 v[2:3], 2, v[3:4]
	v_add_co_u32 v4, vcc_lo, s10, v0
	v_fmac_f16_e32 v95, 0x3b15, v15
	v_fmac_f16_e32 v90, 0xbbc4, v13
	v_fmac_f16_e32 v46, 0x388b, v13
	v_fmac_f16_e32 v74, 0x2fb7, v13
	v_add_co_ci_u32_e32 v13, vcc_lo, s11, v1, vcc_lo
	v_fma_f16 v26, v7, 0xbbc4, -v29
	v_add_f16_e32 v35, v36, v35
	v_fmac_f16_e32 v51, 0xbbc4, v15
	v_fma_f16 v92, v7, 0x3b15, -v91
	v_lshlrev_b64 v[0:1], 2, v[5:6]
	v_add_co_u32 v2, vcc_lo, v4, v2
	v_add_f16_e32 v75, v75, v95
	v_fmac_f16_e32 v42, 0xb5ac, v7
	v_fmac_f16_e32 v86, 0x2fb7, v14
	v_add_co_ci_u32_e32 v3, vcc_lo, v13, v3, vcc_lo
	v_add_f16_e32 v24, v81, v28
	v_add_f16_e32 v26, v82, v26
	;; [unrolled: 1-line block ×3, first 2 shown]
	v_fmac_f16_e32 v77, 0xb9fd, v14
	v_add_f16_e32 v80, v80, v92
	v_add_co_u32 v0, vcc_lo, v2, v0
	v_add_f16_e32 v28, v58, v30
	v_add_f16_e32 v30, v63, v42
	;; [unrolled: 1-line block ×4, first 2 shown]
	v_fmac_f16_e32 v84, 0x2fb7, v7
	v_add_co_ci_u32_e32 v1, vcc_lo, v3, v1, vcc_lo
	v_pack_b32_f16 v2, v21, v19
	v_add_f16_e32 v17, v35, v77
	v_pack_b32_f16 v3, v26, v24
	v_pack_b32_f16 v4, v80, v69
	v_add_f16_e32 v37, v42, v37
	v_add_f16_e32 v42, v45, v90
	v_fmac_f16_e32 v67, 0x388b, v7
	v_add_f16_e32 v22, v55, v84
	v_add_f16_e32 v40, v40, v46
	v_fmac_f16_e32 v79, 0xb9fd, v7
	v_fmac_f16_e32 v29, 0xbbc4, v7
	global_store_dword v[0:1], v2, off
	global_store_dword v[0:1], v3, off offset:572
	global_store_dword v[0:1], v4, off offset:1144
	v_add_co_u32 v2, vcc_lo, 0x800, v0
	v_add_f16_e32 v11, v17, v74
	v_fmac_f16_e32 v91, 0x3b15, v7
	v_pack_b32_f16 v4, v62, v59
	v_pack_b32_f16 v7, v76, v72
	v_add_co_ci_u32_e32 v3, vcc_lo, 0, v1, vcc_lo
	v_add_f16_e32 v25, v66, v85
	v_add_f16_e32 v5, v8, v9
	v_pack_b32_f16 v8, v71, v78
	v_add_f16_e32 v42, v42, v67
	v_pack_b32_f16 v9, v64, v61
	v_add_f16_e32 v20, v20, v41
	v_add_f16_e32 v36, v40, v79
	;; [unrolled: 1-line block ×3, first 2 shown]
	v_pack_b32_f16 v12, v22, v28
	v_add_f16_e32 v11, v11, v91
	global_store_dword v[0:1], v4, off offset:1716
	global_store_dword v[2:3], v7, off offset:240
	;; [unrolled: 1-line block ×5, first 2 shown]
	v_add_co_u32 v2, vcc_lo, 0x1000, v0
	v_pack_b32_f16 v4, v30, v25
	v_add_co_ci_u32_e32 v3, vcc_lo, 0, v1, vcc_lo
	v_pack_b32_f16 v7, v42, v37
	v_add_co_u32 v0, vcc_lo, 0x1800, v0
	v_pack_b32_f16 v8, v36, v20
	v_pack_b32_f16 v9, v11, v10
	v_add_co_ci_u32_e32 v1, vcc_lo, 0, v1, vcc_lo
	v_pack_b32_f16 v5, v6, v5
	global_store_dword v[2:3], v4, off offset:480
	global_store_dword v[2:3], v7, off offset:1052
	;; [unrolled: 1-line block ×5, first 2 shown]
	s_endpgm
	.section	.rodata,"a",@progbits
	.p2align	6, 0x0
	.amdhsa_kernel fft_rtc_fwd_len1859_factors_13_11_13_wgs_169_tpt_169_halfLds_half_op_CI_CI_unitstride_sbrr_dirReg
		.amdhsa_group_segment_fixed_size 0
		.amdhsa_private_segment_fixed_size 0
		.amdhsa_kernarg_size 104
		.amdhsa_user_sgpr_count 6
		.amdhsa_user_sgpr_private_segment_buffer 1
		.amdhsa_user_sgpr_dispatch_ptr 0
		.amdhsa_user_sgpr_queue_ptr 0
		.amdhsa_user_sgpr_kernarg_segment_ptr 1
		.amdhsa_user_sgpr_dispatch_id 0
		.amdhsa_user_sgpr_flat_scratch_init 0
		.amdhsa_user_sgpr_private_segment_size 0
		.amdhsa_wavefront_size32 1
		.amdhsa_uses_dynamic_stack 0
		.amdhsa_system_sgpr_private_segment_wavefront_offset 0
		.amdhsa_system_sgpr_workgroup_id_x 1
		.amdhsa_system_sgpr_workgroup_id_y 0
		.amdhsa_system_sgpr_workgroup_id_z 0
		.amdhsa_system_sgpr_workgroup_info 0
		.amdhsa_system_vgpr_workitem_id 0
		.amdhsa_next_free_vgpr 96
		.amdhsa_next_free_sgpr 27
		.amdhsa_reserve_vcc 1
		.amdhsa_reserve_flat_scratch 0
		.amdhsa_float_round_mode_32 0
		.amdhsa_float_round_mode_16_64 0
		.amdhsa_float_denorm_mode_32 3
		.amdhsa_float_denorm_mode_16_64 3
		.amdhsa_dx10_clamp 1
		.amdhsa_ieee_mode 1
		.amdhsa_fp16_overflow 0
		.amdhsa_workgroup_processor_mode 1
		.amdhsa_memory_ordered 1
		.amdhsa_forward_progress 0
		.amdhsa_shared_vgpr_count 0
		.amdhsa_exception_fp_ieee_invalid_op 0
		.amdhsa_exception_fp_denorm_src 0
		.amdhsa_exception_fp_ieee_div_zero 0
		.amdhsa_exception_fp_ieee_overflow 0
		.amdhsa_exception_fp_ieee_underflow 0
		.amdhsa_exception_fp_ieee_inexact 0
		.amdhsa_exception_int_div_zero 0
	.end_amdhsa_kernel
	.text
.Lfunc_end0:
	.size	fft_rtc_fwd_len1859_factors_13_11_13_wgs_169_tpt_169_halfLds_half_op_CI_CI_unitstride_sbrr_dirReg, .Lfunc_end0-fft_rtc_fwd_len1859_factors_13_11_13_wgs_169_tpt_169_halfLds_half_op_CI_CI_unitstride_sbrr_dirReg
                                        ; -- End function
	.section	.AMDGPU.csdata,"",@progbits
; Kernel info:
; codeLenInByte = 11376
; NumSgprs: 29
; NumVgprs: 96
; ScratchSize: 0
; MemoryBound: 0
; FloatMode: 240
; IeeeMode: 1
; LDSByteSize: 0 bytes/workgroup (compile time only)
; SGPRBlocks: 3
; VGPRBlocks: 11
; NumSGPRsForWavesPerEU: 29
; NumVGPRsForWavesPerEU: 96
; Occupancy: 10
; WaveLimiterHint : 1
; COMPUTE_PGM_RSRC2:SCRATCH_EN: 0
; COMPUTE_PGM_RSRC2:USER_SGPR: 6
; COMPUTE_PGM_RSRC2:TRAP_HANDLER: 0
; COMPUTE_PGM_RSRC2:TGID_X_EN: 1
; COMPUTE_PGM_RSRC2:TGID_Y_EN: 0
; COMPUTE_PGM_RSRC2:TGID_Z_EN: 0
; COMPUTE_PGM_RSRC2:TIDIG_COMP_CNT: 0
	.text
	.p2alignl 6, 3214868480
	.fill 48, 4, 3214868480
	.type	__hip_cuid_46d5802b337254ce,@object ; @__hip_cuid_46d5802b337254ce
	.section	.bss,"aw",@nobits
	.globl	__hip_cuid_46d5802b337254ce
__hip_cuid_46d5802b337254ce:
	.byte	0                               ; 0x0
	.size	__hip_cuid_46d5802b337254ce, 1

	.ident	"AMD clang version 19.0.0git (https://github.com/RadeonOpenCompute/llvm-project roc-6.4.0 25133 c7fe45cf4b819c5991fe208aaa96edf142730f1d)"
	.section	".note.GNU-stack","",@progbits
	.addrsig
	.addrsig_sym __hip_cuid_46d5802b337254ce
	.amdgpu_metadata
---
amdhsa.kernels:
  - .args:
      - .actual_access:  read_only
        .address_space:  global
        .offset:         0
        .size:           8
        .value_kind:     global_buffer
      - .offset:         8
        .size:           8
        .value_kind:     by_value
      - .actual_access:  read_only
        .address_space:  global
        .offset:         16
        .size:           8
        .value_kind:     global_buffer
      - .actual_access:  read_only
        .address_space:  global
        .offset:         24
        .size:           8
        .value_kind:     global_buffer
      - .actual_access:  read_only
        .address_space:  global
        .offset:         32
        .size:           8
        .value_kind:     global_buffer
      - .offset:         40
        .size:           8
        .value_kind:     by_value
      - .actual_access:  read_only
        .address_space:  global
        .offset:         48
        .size:           8
        .value_kind:     global_buffer
      - .actual_access:  read_only
        .address_space:  global
        .offset:         56
        .size:           8
        .value_kind:     global_buffer
      - .offset:         64
        .size:           4
        .value_kind:     by_value
      - .actual_access:  read_only
        .address_space:  global
        .offset:         72
        .size:           8
        .value_kind:     global_buffer
      - .actual_access:  read_only
        .address_space:  global
        .offset:         80
        .size:           8
        .value_kind:     global_buffer
      - .actual_access:  read_only
        .address_space:  global
        .offset:         88
        .size:           8
        .value_kind:     global_buffer
      - .actual_access:  write_only
        .address_space:  global
        .offset:         96
        .size:           8
        .value_kind:     global_buffer
    .group_segment_fixed_size: 0
    .kernarg_segment_align: 8
    .kernarg_segment_size: 104
    .language:       OpenCL C
    .language_version:
      - 2
      - 0
    .max_flat_workgroup_size: 169
    .name:           fft_rtc_fwd_len1859_factors_13_11_13_wgs_169_tpt_169_halfLds_half_op_CI_CI_unitstride_sbrr_dirReg
    .private_segment_fixed_size: 0
    .sgpr_count:     29
    .sgpr_spill_count: 0
    .symbol:         fft_rtc_fwd_len1859_factors_13_11_13_wgs_169_tpt_169_halfLds_half_op_CI_CI_unitstride_sbrr_dirReg.kd
    .uniform_work_group_size: 1
    .uses_dynamic_stack: false
    .vgpr_count:     96
    .vgpr_spill_count: 0
    .wavefront_size: 32
    .workgroup_processor_mode: 1
amdhsa.target:   amdgcn-amd-amdhsa--gfx1030
amdhsa.version:
  - 1
  - 2
...

	.end_amdgpu_metadata
